;; amdgpu-corpus repo=ROCm/rocFFT kind=compiled arch=gfx906 opt=O3
	.text
	.amdgcn_target "amdgcn-amd-amdhsa--gfx906"
	.amdhsa_code_object_version 6
	.protected	fft_rtc_back_len81_factors_9_3_3_wgs_189_tpt_9_dim3_dp_op_CI_CI_unitstride_sbrr_dirReg ; -- Begin function fft_rtc_back_len81_factors_9_3_3_wgs_189_tpt_9_dim3_dp_op_CI_CI_unitstride_sbrr_dirReg
	.globl	fft_rtc_back_len81_factors_9_3_3_wgs_189_tpt_9_dim3_dp_op_CI_CI_unitstride_sbrr_dirReg
	.p2align	8
	.type	fft_rtc_back_len81_factors_9_3_3_wgs_189_tpt_9_dim3_dp_op_CI_CI_unitstride_sbrr_dirReg,@function
fft_rtc_back_len81_factors_9_3_3_wgs_189_tpt_9_dim3_dp_op_CI_CI_unitstride_sbrr_dirReg: ; @fft_rtc_back_len81_factors_9_3_3_wgs_189_tpt_9_dim3_dp_op_CI_CI_unitstride_sbrr_dirReg
; %bb.0:
	s_load_dwordx2 s[2:3], s[4:5], 0x8
	v_mul_u32_u24_e32 v1, 0x1c72, v0
	v_lshrrev_b32_e32 v1, 16, v1
	v_mad_u64_u32 v[38:39], s[6:7], s6, 21, v[1:2]
	s_waitcnt lgkmcnt(0)
	s_load_dwordx2 s[0:1], s[2:3], 0x8
	v_mov_b32_e32 v39, 0
	v_mov_b32_e32 v36, 0
	;; [unrolled: 1-line block ×4, first 2 shown]
	s_waitcnt lgkmcnt(0)
	v_cmp_le_u64_e32 vcc, s[0:1], v[38:39]
	v_mov_b32_e32 v2, v37
	s_and_saveexec_b64 s[6:7], vcc
	s_cbranch_execz .LBB0_2
; %bb.1:
	v_cvt_f32_u32_e32 v1, s0
	s_sub_i32 s8, 0, s0
	v_rcp_iflag_f32_e32 v1, v1
	v_mul_f32_e32 v1, 0x4f7ffffe, v1
	v_cvt_u32_f32_e32 v1, v1
	v_mul_lo_u32 v2, s8, v1
	v_mul_hi_u32 v2, v1, v2
	v_add_u32_e32 v1, v1, v2
	v_mul_hi_u32 v1, v38, v1
	v_mul_lo_u32 v2, v1, s0
	v_add_u32_e32 v3, 1, v1
	v_sub_u32_e32 v2, v38, v2
	v_subrev_u32_e32 v4, s0, v2
	v_cmp_le_u32_e32 vcc, s0, v2
	v_cndmask_b32_e32 v2, v2, v4, vcc
	v_cndmask_b32_e32 v1, v1, v3, vcc
	v_add_u32_e32 v3, 1, v1
	v_cmp_le_u32_e32 vcc, s0, v2
	v_cndmask_b32_e32 v1, v1, v3, vcc
	v_mov_b32_e32 v2, v39
.LBB0_2:
	s_or_b64 exec, exec, s[6:7]
	s_load_dwordx2 s[2:3], s[2:3], 0x10
	s_waitcnt lgkmcnt(0)
	v_cmp_le_u64_e32 vcc, s[2:3], v[1:2]
	s_and_saveexec_b64 s[6:7], vcc
	s_cbranch_execz .LBB0_4
; %bb.3:
	v_cvt_f32_u32_e32 v3, s2
	s_sub_i32 s8, 0, s2
	v_mov_b32_e32 v37, 0
	v_rcp_iflag_f32_e32 v3, v3
	v_mul_f32_e32 v3, 0x4f7ffffe, v3
	v_cvt_u32_f32_e32 v3, v3
	v_mul_lo_u32 v4, s8, v3
	v_mul_hi_u32 v4, v3, v4
	v_add_u32_e32 v3, v3, v4
	v_mul_hi_u32 v3, v1, v3
	v_mul_lo_u32 v4, v3, s2
	v_add_u32_e32 v5, 1, v3
	v_sub_u32_e32 v4, v1, v4
	v_subrev_u32_e32 v6, s2, v4
	v_cmp_le_u32_e32 vcc, s2, v4
	v_cndmask_b32_e32 v4, v4, v6, vcc
	v_cndmask_b32_e32 v3, v3, v5, vcc
	v_add_u32_e32 v5, 1, v3
	v_cmp_le_u32_e32 vcc, s2, v4
	v_cndmask_b32_e32 v36, v3, v5, vcc
.LBB0_4:
	s_or_b64 exec, exec, s[6:7]
	v_mad_u64_u32 v[3:4], s[6:7], v1, s0, 0
	s_load_dwordx4 s[12:15], s[4:5], 0x18
	s_load_dwordx2 s[6:7], s[4:5], 0x0
	v_mad_u64_u32 v[4:5], s[0:1], v1, s1, v[4:5]
	v_mad_u64_u32 v[5:6], s[0:1], v36, s2, 0
	v_mov_b32_e32 v8, v4
	v_sub_co_u32_e32 v39, vcc, v38, v3
	v_mov_b32_e32 v4, v6
	v_mad_u64_u32 v[6:7], s[0:1], v36, s3, v[4:5]
	v_subb_co_u32_e32 v40, vcc, 0, v8, vcc
	v_mov_b32_e32 v3, v6
	s_waitcnt lgkmcnt(0)
	v_cmp_gt_u64_e32 vcc, s[14:15], v[36:37]
	v_cmp_le_u64_e64 s[0:1], s[14:15], v[36:37]
	v_sub_co_u32_e64 v41, s[2:3], v1, v5
	v_subb_co_u32_e64 v42, s[2:3], v2, v3, s[2:3]
                                        ; implicit-def: $vgpr37
	s_and_saveexec_b64 s[2:3], s[0:1]
	s_xor_b64 s[0:1], exec, s[2:3]
; %bb.5:
	s_movk_i32 s2, 0x1c72
	v_mul_u32_u24_sdwa v1, v0, s2 dst_sel:DWORD dst_unused:UNUSED_PAD src0_sel:WORD_0 src1_sel:DWORD
	v_mov_b32_e32 v2, 9
	v_mul_lo_u16_sdwa v1, v1, v2 dst_sel:DWORD dst_unused:UNUSED_PAD src0_sel:WORD_1 src1_sel:DWORD
	v_sub_u16_e32 v37, v0, v1
                                        ; implicit-def: $vgpr0
; %bb.6:
	s_or_saveexec_b64 s[2:3], s[0:1]
                                        ; implicit-def: $vgpr34_vgpr35
                                        ; implicit-def: $vgpr30_vgpr31
                                        ; implicit-def: $vgpr26_vgpr27
                                        ; implicit-def: $vgpr6_vgpr7
                                        ; implicit-def: $vgpr10_vgpr11
                                        ; implicit-def: $vgpr22_vgpr23
                                        ; implicit-def: $vgpr18_vgpr19
                                        ; implicit-def: $vgpr14_vgpr15
                                        ; implicit-def: $vgpr2_vgpr3
	s_xor_b64 exec, exec, s[2:3]
	s_cbranch_execz .LBB0_8
; %bb.7:
	s_load_dwordx2 s[0:1], s[4:5], 0x10
	s_load_dwordx2 s[14:15], s[4:5], 0x50
	s_waitcnt lgkmcnt(0)
	s_load_dwordx4 s[8:11], s[0:1], 0x8
	s_load_dwordx2 s[16:17], s[0:1], 0x18
	s_waitcnt lgkmcnt(0)
	v_mad_u64_u32 v[5:6], s[0:1], s8, v39, 0
	v_mad_u64_u32 v[3:4], s[0:1], s16, v36, 0
	v_mul_lo_u32 v9, s11, v41
	v_mul_lo_u32 v10, s10, v42
	v_mad_u64_u32 v[7:8], s[0:1], s17, v36, v[4:5]
	v_mad_u64_u32 v[1:2], s[0:1], s10, v41, 0
	v_mov_b32_e32 v4, v7
	s_movk_i32 s0, 0x1c72
	v_mul_u32_u24_sdwa v7, v0, s0 dst_sel:DWORD dst_unused:UNUSED_PAD src0_sel:WORD_0 src1_sel:DWORD
	v_mov_b32_e32 v8, 9
	v_lshlrev_b64 v[3:4], 4, v[3:4]
	v_mul_lo_u32 v11, s9, v39
	v_mul_lo_u32 v12, s8, v40
	v_mul_lo_u16_sdwa v7, v7, v8 dst_sel:DWORD dst_unused:UNUSED_PAD src0_sel:WORD_1 src1_sel:DWORD
	v_add3_u32 v2, v2, v10, v9
	v_sub_u16_e32 v37, v0, v7
	v_mov_b32_e32 v0, s15
	v_add_co_u32_e64 v3, s[0:1], s14, v3
	v_addc_co_u32_e64 v4, s[0:1], v0, v4, s[0:1]
	v_lshlrev_b64 v[0:1], 4, v[1:2]
	v_add3_u32 v6, v6, v12, v11
	v_add_co_u32_e64 v2, s[0:1], v3, v0
	v_addc_co_u32_e64 v3, s[0:1], v4, v1, s[0:1]
	v_lshlrev_b64 v[0:1], 4, v[5:6]
	v_add_co_u32_e64 v0, s[0:1], v2, v0
	v_addc_co_u32_e64 v1, s[0:1], v3, v1, s[0:1]
	v_lshlrev_b32_e32 v2, 4, v37
	v_add_co_u32_e64 v43, s[0:1], v0, v2
	v_addc_co_u32_e64 v44, s[0:1], 0, v1, s[0:1]
	global_load_dwordx4 v[0:3], v[43:44], off
	global_load_dwordx4 v[12:15], v[43:44], off offset:144
	global_load_dwordx4 v[16:19], v[43:44], off offset:288
	;; [unrolled: 1-line block ×8, first 2 shown]
.LBB0_8:
	s_or_b64 exec, exec, s[2:3]
	s_waitcnt vmcnt(0)
	v_add_f64 v[43:44], v[32:33], v[12:13]
	v_add_f64 v[45:46], v[34:35], v[14:15]
	;; [unrolled: 1-line block ×3, first 2 shown]
	v_add_f64 v[12:13], v[12:13], -v[32:33]
	v_add_f64 v[47:48], v[28:29], v[16:17]
	v_add_f64 v[14:15], v[14:15], -v[34:35]
	s_mov_b32 s10, 0xa2cf5039
	s_mov_b32 s1, 0x3fe491b7
	;; [unrolled: 1-line block ×4, first 2 shown]
	v_add_f64 v[53:54], v[26:27], v[22:23]
	v_add_f64 v[57:58], v[49:50], v[45:46]
	v_add_f64 v[16:17], v[16:17], -v[28:29]
	v_mul_f64 v[32:33], v[12:13], s[0:1]
	v_fma_f64 v[61:62], v[45:46], s[10:11], v[2:3]
	v_add_f64 v[51:52], v[24:25], v[20:21]
	v_add_f64 v[55:56], v[47:48], v[43:44]
	v_add_f64 v[18:19], v[18:19], -v[30:31]
	v_mul_f64 v[34:35], v[14:15], s[0:1]
	v_fma_f64 v[59:60], v[43:44], s[10:11], v[0:1]
	s_mov_b32 s20, 0x8c811c17
	s_mov_b32 s16, 0x7e0b738b
	;; [unrolled: 1-line block ×4, first 2 shown]
	v_add_f64 v[20:21], v[20:21], -v[24:25]
	v_add_f64 v[22:23], v[22:23], -v[26:27]
	v_add_f64 v[26:27], v[53:54], v[57:58]
	v_fma_f64 v[32:33], v[16:17], s[20:21], v[32:33]
	v_fma_f64 v[61:62], v[49:50], s[16:17], v[61:62]
	v_add_f64 v[24:25], v[51:52], v[55:56]
	v_fma_f64 v[34:35], v[18:19], s[20:21], v[34:35]
	v_fma_f64 v[59:60], v[47:48], s[16:17], v[59:60]
	s_mov_b32 s3, 0x3febb67a
	s_mov_b32 s2, 0xe8584cab
	v_add_f64 v[28:29], v[8:9], -v[4:5]
	v_add_f64 v[30:31], v[10:11], -v[6:7]
	v_add_f64 v[26:27], v[10:11], v[26:27]
	v_fma_f64 v[32:33], v[20:21], s[2:3], v[32:33]
	v_add_f64 v[65:66], v[6:7], v[10:11]
	v_fma_f64 v[10:11], v[53:54], -0.5, v[61:62]
	v_add_f64 v[24:25], v[8:9], v[24:25]
	v_fma_f64 v[34:35], v[22:23], s[2:3], v[34:35]
	v_add_f64 v[63:64], v[4:5], v[8:9]
	v_fma_f64 v[8:9], v[51:52], -0.5, v[59:60]
	s_mov_b32 s8, 0x748a0bf8
	s_mov_b32 s18, 0x42522d1b
	;; [unrolled: 1-line block ×4, first 2 shown]
	v_fma_f64 v[32:33], v[28:29], s[8:9], v[32:33]
	v_fma_f64 v[10:11], v[65:66], s[18:19], v[10:11]
	s_mov_b32 s1, 0xbfe491b7
	v_fma_f64 v[34:35], v[30:31], s[8:9], v[34:35]
	v_fma_f64 v[8:9], v[63:64], s[18:19], v[8:9]
	v_mul_f64 v[59:60], v[28:29], s[0:1]
	s_mov_b32 s14, 0x86186187
	v_add_f64 v[61:62], v[4:5], v[24:25]
	v_mul_hi_u32 v24, v38, s14
	v_add_f64 v[67:68], v[6:7], v[26:27]
	v_add_f64 v[6:7], v[32:33], v[10:11]
	s_mov_b32 s15, 0xbfebb67a
	v_sub_u32_e32 v10, v38, v24
	v_add_f64 v[4:5], v[8:9], -v[34:35]
	v_fma_f64 v[8:9], v[12:13], s[20:21], v[59:60]
	v_lshrrev_b32_e32 v25, 1, v10
	v_mul_f64 v[10:11], v[30:31], s[0:1]
	v_add_u32_e32 v24, v25, v24
	v_lshrrev_b32_e32 v24, 4, v24
	v_mul_lo_u32 v26, v24, 21
	s_mov_b32 s14, s2
	v_add_f64 v[69:70], v[30:31], v[14:15]
	v_fma_f64 v[24:25], v[20:21], s[14:15], v[8:9]
	v_sub_u32_e32 v38, v38, v26
	v_fma_f64 v[26:27], v[14:15], s[20:21], v[10:11]
	v_fma_f64 v[8:9], v[34:35], 2.0, v[4:5]
	v_add_f64 v[34:35], v[28:29], v[12:13]
	v_fma_f64 v[10:11], v[32:33], -2.0, v[6:7]
	v_fma_f64 v[32:33], v[63:64], s[10:11], v[0:1]
	v_mul_f64 v[28:29], v[28:29], s[20:21]
	v_fma_f64 v[59:60], v[16:17], s[8:9], v[24:25]
	v_fma_f64 v[24:25], v[65:66], s[10:11], v[2:3]
	;; [unrolled: 1-line block ×3, first 2 shown]
	v_mul_f64 v[30:31], v[30:31], s[20:21]
	v_add_f64 v[34:35], v[34:35], -v[16:17]
	v_fma_f64 v[71:72], v[49:50], s[10:11], v[2:3]
	v_fma_f64 v[32:33], v[43:44], s[16:17], v[32:33]
	v_fma_f64 v[16:17], v[16:17], s[0:1], -v[28:29]
	v_fma_f64 v[28:29], v[47:48], s[10:11], v[0:1]
	v_fma_f64 v[24:25], v[45:46], s[16:17], v[24:25]
	;; [unrolled: 1-line block ×3, first 2 shown]
	v_add_f64 v[69:70], v[69:70], -v[18:19]
	v_fma_f64 v[18:19], v[18:19], s[0:1], -v[30:31]
	v_mul_u32_u24_e32 v38, 0x51, v38
	v_fma_f64 v[30:31], v[51:52], -0.5, v[32:33]
	v_add_f64 v[32:33], v[63:64], v[55:56]
	v_fma_f64 v[28:29], v[63:64], s[16:17], v[28:29]
	v_fma_f64 v[63:64], v[65:66], s[16:17], v[71:72]
	v_fma_f64 v[24:25], v[53:54], -0.5, v[24:25]
	v_add_f64 v[55:56], v[65:66], v[57:58]
	v_add_f64 v[57:58], v[51:52], v[0:1]
	v_add_f64 v[65:66], v[53:54], v[2:3]
	v_fma_f64 v[16:17], v[20:21], s[2:3], v[16:17]
	v_fma_f64 v[18:19], v[22:23], s[2:3], v[18:19]
	v_fma_f64 v[20:21], v[51:52], -0.5, v[28:29]
	v_fma_f64 v[22:23], v[47:48], s[18:19], v[30:31]
	v_fma_f64 v[30:31], v[53:54], -0.5, v[63:64]
	;; [unrolled: 2-line block ×3, first 2 shown]
	v_fma_f64 v[32:33], v[55:56], -0.5, v[65:66]
	v_fma_f64 v[47:48], v[12:13], s[8:9], v[16:17]
	v_fma_f64 v[49:50], v[14:15], s[8:9], v[18:19]
	;; [unrolled: 1-line block ×3, first 2 shown]
	v_add_f64 v[12:13], v[22:23], -v[26:27]
	v_fma_f64 v[30:31], v[45:46], s[18:19], v[30:31]
	v_mul_f64 v[43:44], v[69:70], s[2:3]
	v_fma_f64 v[16:17], v[69:70], s[14:15], v[28:29]
	v_fma_f64 v[18:19], v[34:35], s[2:3], v[32:33]
	v_mul_f64 v[32:33], v[34:35], s[2:3]
	v_add_f64 v[14:15], v[59:60], v[24:25]
	v_add_f64 v[20:21], v[20:21], -v[49:50]
	v_add_f64 v[0:1], v[0:1], v[61:62]
	v_add_f64 v[22:23], v[47:48], v[30:31]
	;; [unrolled: 1-line block ×3, first 2 shown]
	v_fma_f64 v[28:29], v[43:44], 2.0, v[16:17]
	v_lshl_add_u32 v38, v38, 4, 0
	v_fma_f64 v[30:31], v[32:33], -2.0, v[18:19]
	s_movk_i32 s0, 0x90
	v_fma_f64 v[32:33], v[49:50], 2.0, v[20:21]
	v_fma_f64 v[24:25], v[26:27], 2.0, v[12:13]
	v_fma_f64 v[34:35], v[47:48], -2.0, v[22:23]
	v_fma_f64 v[26:27], v[59:60], -2.0, v[14:15]
	v_mad_u32_u24 v43, v37, s0, v38
	s_load_dwordx2 s[16:17], s[12:13], 0x8
	s_load_dwordx4 s[8:11], s[12:13], 0x10
	ds_write_b128 v43, v[0:3]
	ds_write_b128 v43, v[4:7] offset:16
	ds_write_b128 v43, v[12:15] offset:32
	;; [unrolled: 1-line block ×8, first 2 shown]
	v_lshlrev_b32_e32 v0, 1, v37
	v_mov_b32_e32 v1, 0
	v_lshlrev_b64 v[2:3], 4, v[0:1]
	v_mov_b32_e32 v0, s7
	v_add_co_u32_e64 v2, s[0:1], s6, v2
	v_addc_co_u32_e64 v3, s[0:1], v0, v3, s[0:1]
	s_waitcnt lgkmcnt(0)
	s_barrier
	global_load_dwordx4 v[5:8], v[2:3], off
	global_load_dwordx4 v[9:12], v[2:3], off offset:16
	v_add_u32_e32 v0, 18, v37
	v_mov_b32_e32 v4, 57
	v_mul_lo_u16_sdwa v4, v0, v4 dst_sel:DWORD dst_unused:UNUSED_PAD src0_sel:BYTE_0 src1_sel:DWORD
	v_lshrrev_b16_e32 v4, 9, v4
	v_mul_lo_u16_e32 v4, 9, v4
	v_sub_u16_e32 v4, v0, v4
	v_and_b32_e32 v35, 0xff, v4
	v_lshlrev_b32_e32 v4, 5, v35
	global_load_dwordx4 v[13:16], v4, s[6:7]
	global_load_dwordx4 v[17:20], v4, s[6:7] offset:16
	v_lshlrev_b32_e32 v4, 7, v37
	v_sub_u32_e32 v4, v43, v4
	ds_read_b128 v[21:24], v4 offset:432
	ds_read_b128 v[25:28], v4 offset:288
	;; [unrolled: 1-line block ×6, first 2 shown]
	s_mov_b32 s14, 0xe8584caa
	s_mov_b32 s2, s14
	s_movk_i32 s12, 0x51
	s_waitcnt vmcnt(3) lgkmcnt(5)
	v_mul_f64 v[33:34], v[23:24], v[7:8]
	v_mul_f64 v[55:56], v[21:22], v[7:8]
	s_waitcnt lgkmcnt(3)
	v_mul_f64 v[57:58], v[31:32], v[7:8]
	v_mul_f64 v[7:8], v[29:30], v[7:8]
	s_waitcnt vmcnt(2) lgkmcnt(1)
	v_mul_f64 v[59:60], v[47:48], v[11:12]
	v_fma_f64 v[33:34], v[21:22], v[5:6], v[33:34]
	v_mul_f64 v[21:22], v[49:50], v[11:12]
	v_fma_f64 v[55:56], v[23:24], v[5:6], -v[55:56]
	v_fma_f64 v[29:30], v[29:30], v[5:6], v[57:58]
	v_fma_f64 v[31:32], v[31:32], v[5:6], -v[7:8]
	s_waitcnt vmcnt(1)
	v_mul_f64 v[5:6], v[45:46], v[15:16]
	v_fma_f64 v[49:50], v[49:50], v[9:10], -v[59:60]
	v_mul_f64 v[15:16], v[43:44], v[15:16]
	v_fma_f64 v[47:48], v[47:48], v[9:10], v[21:22]
	ds_read_b128 v[21:24], v4 offset:1152
	s_waitcnt lgkmcnt(1)
	v_mul_f64 v[57:58], v[53:54], v[11:12]
	v_mul_f64 v[11:12], v[51:52], v[11:12]
	v_fma_f64 v[43:44], v[43:44], v[13:14], v[5:6]
	v_lshl_add_u32 v5, v37, 4, v38
	v_add_f64 v[59:60], v[55:56], v[49:50]
	v_fma_f64 v[45:46], v[45:46], v[13:14], -v[15:16]
	v_fma_f64 v[51:52], v[51:52], v[9:10], v[57:58]
	v_fma_f64 v[53:54], v[53:54], v[9:10], -v[11:12]
	s_waitcnt vmcnt(0) lgkmcnt(0)
	v_mul_f64 v[10:11], v[23:24], v[19:20]
	v_mul_f64 v[19:20], v[21:22], v[19:20]
	v_add_f64 v[57:58], v[33:34], v[47:48]
	ds_read_b128 v[6:9], v5
	v_fma_f64 v[61:62], v[21:22], v[17:18], v[10:11]
	ds_read_b128 v[10:13], v4 offset:144
	s_waitcnt lgkmcnt(1)
	v_add_f64 v[14:15], v[8:9], v[55:56]
	v_add_f64 v[21:22], v[6:7], v[33:34]
	v_fma_f64 v[63:64], v[23:24], v[17:18], -v[19:20]
	v_add_f64 v[23:24], v[29:30], v[51:52]
	v_fma_f64 v[16:17], v[57:58], -0.5, v[6:7]
	v_add_f64 v[57:58], v[31:32], v[53:54]
	v_add_f64 v[55:56], v[55:56], -v[49:50]
	v_fma_f64 v[18:19], v[59:60], -0.5, v[8:9]
	v_add_f64 v[8:9], v[14:15], v[49:50]
	v_add_f64 v[6:7], v[21:22], v[47:48]
	v_add_f64 v[20:21], v[33:34], -v[47:48]
	s_waitcnt lgkmcnt(0)
	v_fma_f64 v[33:34], v[23:24], -0.5, v[10:11]
	v_add_f64 v[22:23], v[12:13], v[31:32]
	v_add_f64 v[49:50], v[10:11], v[29:30]
	v_fma_f64 v[47:48], v[57:58], -0.5, v[12:13]
	v_fma_f64 v[10:11], v[55:56], s[14:15], v[16:17]
	v_add_f64 v[57:58], v[43:44], v[61:62]
	v_fma_f64 v[14:15], v[55:56], s[2:3], v[16:17]
	v_add_f64 v[55:56], v[45:46], v[63:64]
	v_add_f64 v[31:32], v[31:32], -v[53:54]
	v_add_f64 v[29:30], v[29:30], -v[51:52]
	v_fma_f64 v[12:13], v[20:21], s[2:3], v[18:19]
	v_fma_f64 v[16:17], v[20:21], s[14:15], v[18:19]
	v_add_f64 v[20:21], v[22:23], v[53:54]
	v_add_f64 v[18:19], v[49:50], v[51:52]
	;; [unrolled: 1-line block ×4, first 2 shown]
	v_fma_f64 v[49:50], v[57:58], -0.5, v[25:26]
	v_add_f64 v[45:46], v[45:46], -v[63:64]
	v_fma_f64 v[55:56], v[55:56], -0.5, v[27:28]
	v_add_f64 v[57:58], v[43:44], -v[61:62]
	v_fma_f64 v[22:23], v[31:32], s[14:15], v[33:34]
	v_fma_f64 v[26:27], v[31:32], s[2:3], v[33:34]
	;; [unrolled: 1-line block ×4, first 2 shown]
	v_add_f64 v[32:33], v[51:52], v[63:64]
	v_add_f64 v[30:31], v[53:54], v[61:62]
	v_fma_f64 v[43:44], v[45:46], s[14:15], v[49:50]
	v_fma_f64 v[47:48], v[45:46], s[2:3], v[49:50]
	;; [unrolled: 1-line block ×4, first 2 shown]
	s_barrier
	ds_write_b128 v4, v[6:9]
	v_lshl_add_u32 v6, v35, 4, v38
	ds_write_b128 v4, v[10:13] offset:144
	ds_write_b128 v4, v[14:17] offset:288
	;; [unrolled: 1-line block ×8, first 2 shown]
	s_waitcnt lgkmcnt(0)
	s_barrier
	s_and_saveexec_b64 s[0:1], vcc
	s_cbranch_execz .LBB0_10
; %bb.9:
	global_load_dwordx4 v[6:9], v[2:3], off offset:304
	global_load_dwordx4 v[10:13], v[2:3], off offset:288
	v_lshlrev_b32_e32 v0, 1, v0
	v_lshlrev_b64 v[14:15], 4, v[0:1]
	v_mov_b32_e32 v22, s7
	v_add_co_u32_e32 v2, vcc, s6, v14
	v_addc_co_u32_e32 v3, vcc, v22, v15, vcc
	global_load_dwordx4 v[14:17], v[2:3], off offset:304
	global_load_dwordx4 v[18:21], v[2:3], off offset:288
	v_lshl_add_u32 v0, v37, 1, 18
	v_lshlrev_b64 v[2:3], 4, v[0:1]
	s_load_dwordx2 s[0:1], s[4:5], 0x58
	v_add_co_u32_e32 v2, vcc, s6, v2
	v_addc_co_u32_e32 v3, vcc, v22, v3, vcc
	global_load_dwordx4 v[22:25], v[2:3], off offset:288
	global_load_dwordx4 v[26:29], v[2:3], off offset:304
	v_mul_lo_u32 v0, s9, v41
	v_mul_lo_u32 v70, s8, v42
	v_mad_u64_u32 v[34:35], s[4:5], s8, v41, 0
	v_mad_u64_u32 v[66:67], s[4:5], s10, v36, 0
	v_mul_lo_u32 v71, s17, v39
	v_mul_lo_u32 v72, s16, v40
	v_mad_u64_u32 v[68:69], s[4:5], s16, v39, 0
	ds_read_b128 v[30:33], v4 offset:1152
	ds_read_b128 v[38:41], v4 offset:720
	;; [unrolled: 1-line block ×4, first 2 shown]
	ds_read_b128 v[50:53], v5
	ds_read_b128 v[54:57], v4 offset:288
	ds_read_b128 v[58:61], v4 offset:432
	;; [unrolled: 1-line block ×4, first 2 shown]
	v_add3_u32 v35, v35, v70, v0
	v_mov_b32_e32 v0, v67
	v_add3_u32 v69, v69, v72, v71
	v_mad_u64_u32 v[70:71], s[4:5], s11, v36, v[0:1]
	s_mov_b32 s6, 0x2f684bdb
	v_mul_hi_u32 v73, v37, s6
	v_mov_b32_e32 v67, v70
	s_waitcnt lgkmcnt(0)
	v_mov_b32_e32 v36, s1
	v_lshlrev_b64 v[34:35], 4, v[34:35]
	v_sub_u32_e32 v0, v37, v73
	v_lshrrev_b32_e32 v0, 1, v0
	v_add_u32_e32 v0, v0, v73
	v_lshrrev_b32_e32 v0, 4, v0
	v_mul_lo_u32 v0, v0, 27
	v_sub_u32_e32 v0, v37, v0
	v_lshlrev_b32_e32 v0, 4, v0
	s_waitcnt vmcnt(5)
	v_mul_f64 v[73:74], v[8:9], v[2:3]
	s_waitcnt vmcnt(4)
	v_mul_f64 v[71:72], v[12:13], v[58:59]
	v_mul_f64 v[58:59], v[10:11], v[58:59]
	;; [unrolled: 1-line block ×3, first 2 shown]
	v_fma_f64 v[6:7], v[6:7], v[4:5], -v[73:74]
	s_waitcnt vmcnt(2)
	v_mul_f64 v[75:76], v[20:21], v[38:39]
	v_fma_f64 v[12:13], v[60:61], v[12:13], v[58:59]
	v_mul_f64 v[58:59], v[16:17], v[30:31]
	v_mul_f64 v[38:39], v[18:19], v[38:39]
	;; [unrolled: 1-line block ×3, first 2 shown]
	v_fma_f64 v[10:11], v[10:11], v[60:61], -v[71:72]
	v_fma_f64 v[2:3], v[4:5], v[8:9], v[2:3]
	s_waitcnt vmcnt(1)
	v_mul_f64 v[60:61], v[24:25], v[42:43]
	s_waitcnt vmcnt(0)
	v_mul_f64 v[4:5], v[28:29], v[62:63]
	v_mul_f64 v[8:9], v[22:23], v[42:43]
	;; [unrolled: 1-line block ×3, first 2 shown]
	v_fma_f64 v[18:19], v[18:19], v[40:41], -v[75:76]
	v_fma_f64 v[14:15], v[14:15], v[32:33], -v[58:59]
	v_fma_f64 v[20:21], v[40:41], v[20:21], v[38:39]
	v_fma_f64 v[16:17], v[32:33], v[16:17], v[30:31]
	v_fma_f64 v[22:23], v[22:23], v[44:45], -v[60:61]
	v_fma_f64 v[26:27], v[26:27], v[64:65], -v[4:5]
	v_fma_f64 v[4:5], v[44:45], v[24:25], v[8:9]
	v_fma_f64 v[24:25], v[64:65], v[28:29], v[42:43]
	v_add_f64 v[8:9], v[10:11], v[6:7]
	v_add_f64 v[38:39], v[18:19], v[14:15]
	;; [unrolled: 1-line block ×3, first 2 shown]
	v_add_f64 v[44:45], v[18:19], -v[14:15]
	v_add_f64 v[18:19], v[20:21], v[16:17]
	v_add_f64 v[28:29], v[12:13], -v[2:3]
	v_add_f64 v[30:31], v[52:53], v[10:11]
	;; [unrolled: 2-line block ×3, first 2 shown]
	v_add_f64 v[12:13], v[12:13], v[50:51]
	v_add_f64 v[58:59], v[22:23], v[26:27]
	;; [unrolled: 1-line block ×3, first 2 shown]
	v_add_f64 v[64:65], v[22:23], -v[26:27]
	v_add_f64 v[22:23], v[4:5], v[24:25]
	v_fma_f64 v[52:53], v[8:9], -0.5, v[52:53]
	v_add_f64 v[8:9], v[42:43], v[14:15]
	v_fma_f64 v[42:43], v[18:19], -0.5, v[54:55]
	v_add_f64 v[70:71], v[4:5], v[46:47]
	v_add_f64 v[2:3], v[2:3], v[12:13]
	;; [unrolled: 1-line block ×3, first 2 shown]
	v_add_f64 v[40:41], v[20:21], -v[16:17]
	v_fma_f64 v[46:47], v[22:23], -0.5, v[46:47]
	v_add_f64 v[20:21], v[20:21], v[54:55]
	v_add_f64 v[60:61], v[4:5], -v[24:25]
	v_fma_f64 v[22:23], v[44:45], s[2:3], v[42:43]
	v_fma_f64 v[26:27], v[44:45], s[14:15], v[42:43]
	v_lshlrev_b64 v[42:43], 4, v[66:67]
	v_add_f64 v[4:5], v[30:31], v[6:7]
	v_add_co_u32_e32 v42, vcc, s0, v42
	v_addc_co_u32_e32 v36, vcc, v36, v43, vcc
	v_add_u32_e32 v43, 9, v37
	v_mul_hi_u32 v44, v43, s6
	v_add_co_u32_e32 v42, vcc, v42, v34
	v_addc_co_u32_e32 v36, vcc, v36, v35, vcc
	v_lshlrev_b64 v[34:35], 4, v[68:69]
	v_fma_f64 v[30:31], v[10:11], -0.5, v[50:51]
	v_add_co_u32_e32 v42, vcc, v42, v34
	v_sub_u32_e32 v34, v43, v44
	v_lshrrev_b32_e32 v34, 1, v34
	v_add_u32_e32 v34, v34, v44
	v_lshrrev_b32_e32 v44, 4, v34
	v_mul_lo_u32 v45, v44, 27
	v_addc_co_u32_e32 v36, vcc, v36, v35, vcc
	v_add_co_u32_e32 v34, vcc, v42, v0
	v_addc_co_u32_e32 v35, vcc, 0, v36, vcc
	v_sub_u32_e32 v0, v43, v45
	v_add_f64 v[6:7], v[16:17], v[20:21]
	v_add_f64 v[10:11], v[24:25], v[70:71]
	v_fma_f64 v[20:21], v[28:29], s[2:3], v[52:53]
	v_fma_f64 v[18:19], v[32:33], s[14:15], v[30:31]
	global_store_dwordx4 v[34:35], v[2:5], off
	v_fma_f64 v[16:17], v[28:29], s[14:15], v[52:53]
	v_mad_u64_u32 v[2:3], s[0:1], v44, s12, v[0:1]
	v_fma_f64 v[14:15], v[32:33], s[2:3], v[30:31]
	v_mov_b32_e32 v3, v1
	v_fma_f64 v[38:39], v[38:39], -0.5, v[56:57]
	v_fma_f64 v[48:49], v[58:59], -0.5, v[48:49]
	v_lshlrev_b64 v[3:4], 4, v[2:3]
	v_add_u32_e32 v0, 27, v2
	v_add_co_u32_e32 v3, vcc, v42, v3
	v_addc_co_u32_e32 v4, vcc, v36, v4, vcc
	v_add_u32_e32 v5, 18, v37
	global_store_dwordx4 v[34:35], v[18:21], off offset:432
	global_store_dwordx4 v[34:35], v[14:17], off offset:864
	global_store_dwordx4 v[3:4], v[10:13], off
	v_lshlrev_b64 v[3:4], 4, v[0:1]
	v_mul_hi_u32 v0, v5, s6
	v_fma_f64 v[24:25], v[40:41], s[14:15], v[38:39]
	v_fma_f64 v[28:29], v[40:41], s[2:3], v[38:39]
	;; [unrolled: 1-line block ×4, first 2 shown]
	v_sub_u32_e32 v10, v5, v0
	v_lshrrev_b32_e32 v10, 1, v10
	v_add_u32_e32 v0, v10, v0
	v_lshrrev_b32_e32 v10, 4, v0
	v_mul_lo_u32 v11, v10, 27
	v_fma_f64 v[32:33], v[60:61], s[14:15], v[48:49]
	v_fma_f64 v[30:31], v[64:65], s[2:3], v[46:47]
	v_add_co_u32_e32 v3, vcc, v42, v3
	v_addc_co_u32_e32 v4, vcc, v36, v4, vcc
	v_add_u32_e32 v0, 54, v2
	global_store_dwordx4 v[3:4], v[38:41], off
	v_lshlrev_b64 v[2:3], 4, v[0:1]
	v_sub_u32_e32 v0, v5, v11
	v_mad_u64_u32 v[4:5], s[0:1], v10, s12, v[0:1]
	v_add_co_u32_e32 v2, vcc, v42, v2
	v_addc_co_u32_e32 v3, vcc, v36, v3, vcc
	v_mov_b32_e32 v5, v1
	global_store_dwordx4 v[2:3], v[30:33], off
	v_lshlrev_b64 v[2:3], 4, v[4:5]
	v_add_u32_e32 v0, 27, v4
	v_add_co_u32_e32 v2, vcc, v42, v2
	v_addc_co_u32_e32 v3, vcc, v36, v3, vcc
	global_store_dwordx4 v[2:3], v[6:9], off
	v_lshlrev_b64 v[2:3], 4, v[0:1]
	v_add_u32_e32 v0, 54, v4
	v_add_co_u32_e32 v2, vcc, v42, v2
	v_lshlrev_b64 v[0:1], 4, v[0:1]
	v_addc_co_u32_e32 v3, vcc, v36, v3, vcc
	v_add_co_u32_e32 v0, vcc, v42, v0
	v_addc_co_u32_e32 v1, vcc, v36, v1, vcc
	global_store_dwordx4 v[2:3], v[26:29], off
	global_store_dwordx4 v[0:1], v[22:25], off
.LBB0_10:
	s_endpgm
	.section	.rodata,"a",@progbits
	.p2align	6, 0x0
	.amdhsa_kernel fft_rtc_back_len81_factors_9_3_3_wgs_189_tpt_9_dim3_dp_op_CI_CI_unitstride_sbrr_dirReg
		.amdhsa_group_segment_fixed_size 0
		.amdhsa_private_segment_fixed_size 0
		.amdhsa_kernarg_size 96
		.amdhsa_user_sgpr_count 6
		.amdhsa_user_sgpr_private_segment_buffer 1
		.amdhsa_user_sgpr_dispatch_ptr 0
		.amdhsa_user_sgpr_queue_ptr 0
		.amdhsa_user_sgpr_kernarg_segment_ptr 1
		.amdhsa_user_sgpr_dispatch_id 0
		.amdhsa_user_sgpr_flat_scratch_init 0
		.amdhsa_user_sgpr_private_segment_size 0
		.amdhsa_uses_dynamic_stack 0
		.amdhsa_system_sgpr_private_segment_wavefront_offset 0
		.amdhsa_system_sgpr_workgroup_id_x 1
		.amdhsa_system_sgpr_workgroup_id_y 0
		.amdhsa_system_sgpr_workgroup_id_z 0
		.amdhsa_system_sgpr_workgroup_info 0
		.amdhsa_system_vgpr_workitem_id 0
		.amdhsa_next_free_vgpr 77
		.amdhsa_next_free_sgpr 22
		.amdhsa_reserve_vcc 1
		.amdhsa_reserve_flat_scratch 0
		.amdhsa_float_round_mode_32 0
		.amdhsa_float_round_mode_16_64 0
		.amdhsa_float_denorm_mode_32 3
		.amdhsa_float_denorm_mode_16_64 3
		.amdhsa_dx10_clamp 1
		.amdhsa_ieee_mode 1
		.amdhsa_fp16_overflow 0
		.amdhsa_exception_fp_ieee_invalid_op 0
		.amdhsa_exception_fp_denorm_src 0
		.amdhsa_exception_fp_ieee_div_zero 0
		.amdhsa_exception_fp_ieee_overflow 0
		.amdhsa_exception_fp_ieee_underflow 0
		.amdhsa_exception_fp_ieee_inexact 0
		.amdhsa_exception_int_div_zero 0
	.end_amdhsa_kernel
	.text
.Lfunc_end0:
	.size	fft_rtc_back_len81_factors_9_3_3_wgs_189_tpt_9_dim3_dp_op_CI_CI_unitstride_sbrr_dirReg, .Lfunc_end0-fft_rtc_back_len81_factors_9_3_3_wgs_189_tpt_9_dim3_dp_op_CI_CI_unitstride_sbrr_dirReg
                                        ; -- End function
	.section	.AMDGPU.csdata,"",@progbits
; Kernel info:
; codeLenInByte = 3988
; NumSgprs: 26
; NumVgprs: 77
; ScratchSize: 0
; MemoryBound: 1
; FloatMode: 240
; IeeeMode: 1
; LDSByteSize: 0 bytes/workgroup (compile time only)
; SGPRBlocks: 3
; VGPRBlocks: 19
; NumSGPRsForWavesPerEU: 26
; NumVGPRsForWavesPerEU: 77
; Occupancy: 3
; WaveLimiterHint : 1
; COMPUTE_PGM_RSRC2:SCRATCH_EN: 0
; COMPUTE_PGM_RSRC2:USER_SGPR: 6
; COMPUTE_PGM_RSRC2:TRAP_HANDLER: 0
; COMPUTE_PGM_RSRC2:TGID_X_EN: 1
; COMPUTE_PGM_RSRC2:TGID_Y_EN: 0
; COMPUTE_PGM_RSRC2:TGID_Z_EN: 0
; COMPUTE_PGM_RSRC2:TIDIG_COMP_CNT: 0
	.type	__hip_cuid_bb7083f7fd167531,@object ; @__hip_cuid_bb7083f7fd167531
	.section	.bss,"aw",@nobits
	.globl	__hip_cuid_bb7083f7fd167531
__hip_cuid_bb7083f7fd167531:
	.byte	0                               ; 0x0
	.size	__hip_cuid_bb7083f7fd167531, 1

	.ident	"AMD clang version 19.0.0git (https://github.com/RadeonOpenCompute/llvm-project roc-6.4.0 25133 c7fe45cf4b819c5991fe208aaa96edf142730f1d)"
	.section	".note.GNU-stack","",@progbits
	.addrsig
	.addrsig_sym __hip_cuid_bb7083f7fd167531
	.amdgpu_metadata
---
amdhsa.kernels:
  - .args:
      - .actual_access:  read_only
        .address_space:  global
        .offset:         0
        .size:           8
        .value_kind:     global_buffer
      - .actual_access:  read_only
        .address_space:  global
        .offset:         8
        .size:           8
        .value_kind:     global_buffer
      - .actual_access:  read_only
        .address_space:  global
        .offset:         16
        .size:           8
        .value_kind:     global_buffer
      - .actual_access:  read_only
        .address_space:  global
        .offset:         24
        .size:           8
        .value_kind:     global_buffer
      - .offset:         32
        .size:           8
        .value_kind:     by_value
      - .actual_access:  read_only
        .address_space:  global
        .offset:         40
        .size:           8
        .value_kind:     global_buffer
      - .actual_access:  read_only
        .address_space:  global
        .offset:         48
        .size:           8
        .value_kind:     global_buffer
      - .offset:         56
        .size:           4
        .value_kind:     by_value
      - .actual_access:  read_only
        .address_space:  global
        .offset:         64
        .size:           8
        .value_kind:     global_buffer
      - .actual_access:  read_only
        .address_space:  global
        .offset:         72
        .size:           8
        .value_kind:     global_buffer
      - .actual_access:  read_only
        .address_space:  global
        .offset:         80
        .size:           8
        .value_kind:     global_buffer
      - .actual_access:  write_only
        .address_space:  global
        .offset:         88
        .size:           8
        .value_kind:     global_buffer
    .group_segment_fixed_size: 0
    .kernarg_segment_align: 8
    .kernarg_segment_size: 96
    .language:       OpenCL C
    .language_version:
      - 2
      - 0
    .max_flat_workgroup_size: 189
    .name:           fft_rtc_back_len81_factors_9_3_3_wgs_189_tpt_9_dim3_dp_op_CI_CI_unitstride_sbrr_dirReg
    .private_segment_fixed_size: 0
    .sgpr_count:     26
    .sgpr_spill_count: 0
    .symbol:         fft_rtc_back_len81_factors_9_3_3_wgs_189_tpt_9_dim3_dp_op_CI_CI_unitstride_sbrr_dirReg.kd
    .uniform_work_group_size: 1
    .uses_dynamic_stack: false
    .vgpr_count:     77
    .vgpr_spill_count: 0
    .wavefront_size: 64
amdhsa.target:   amdgcn-amd-amdhsa--gfx906
amdhsa.version:
  - 1
  - 2
...

	.end_amdgpu_metadata
